;; amdgpu-corpus repo=ROCm/rocFFT kind=compiled arch=gfx906 opt=O3
	.text
	.amdgcn_target "amdgcn-amd-amdhsa--gfx906"
	.amdhsa_code_object_version 6
	.protected	bluestein_single_back_len1120_dim1_dp_op_CI_CI ; -- Begin function bluestein_single_back_len1120_dim1_dp_op_CI_CI
	.globl	bluestein_single_back_len1120_dim1_dp_op_CI_CI
	.p2align	8
	.type	bluestein_single_back_len1120_dim1_dp_op_CI_CI,@function
bluestein_single_back_len1120_dim1_dp_op_CI_CI: ; @bluestein_single_back_len1120_dim1_dp_op_CI_CI
; %bb.0:
	s_load_dwordx4 s[12:15], s[4:5], 0x28
	v_mul_u32_u24_e32 v1, 0x125, v0
	v_add_u32_sdwa v100, s6, v1 dst_sel:DWORD dst_unused:UNUSED_PAD src0_sel:DWORD src1_sel:WORD_1
	v_mov_b32_e32 v101, 0
	s_waitcnt lgkmcnt(0)
	v_cmp_gt_u64_e32 vcc, s[12:13], v[100:101]
	s_and_saveexec_b64 s[0:1], vcc
	s_cbranch_execz .LBB0_55
; %bb.1:
	s_load_dwordx4 s[8:11], s[4:5], 0x18
	s_load_dwordx2 s[12:13], s[4:5], 0x0
	s_movk_i32 s6, 0xe0
	v_mul_lo_u16_sdwa v1, v1, s6 dst_sel:DWORD dst_unused:UNUSED_PAD src0_sel:WORD_1 src1_sel:DWORD
	v_sub_u16_e32 v116, v0, v1
	s_waitcnt lgkmcnt(0)
	s_load_dwordx4 s[0:3], s[8:9], 0x0
	v_lshlrev_b32_e32 v113, 4, v116
	s_waitcnt lgkmcnt(0)
	v_mad_u64_u32 v[0:1], s[6:7], s2, v100, 0
	v_mad_u64_u32 v[2:3], s[6:7], s0, v116, 0
	s_mul_i32 s6, s1, 0x230
	s_mul_hi_u32 s7, s0, 0x230
	v_mad_u64_u32 v[4:5], s[2:3], s3, v100, v[1:2]
	s_add_i32 s7, s7, s6
	s_mul_i32 s6, s0, 0x230
	v_mad_u64_u32 v[5:6], s[2:3], s1, v116, v[3:4]
	v_mov_b32_e32 v1, v4
	v_lshlrev_b64 v[0:1], 4, v[0:1]
	v_mov_b32_e32 v6, s15
	v_mov_b32_e32 v3, v5
	v_add_co_u32_e32 v4, vcc, s14, v0
	v_addc_co_u32_e32 v5, vcc, v6, v1, vcc
	v_lshlrev_b64 v[0:1], 4, v[2:3]
	v_mov_b32_e32 v2, s13
	v_add_co_u32_e32 v0, vcc, v4, v0
	v_add_co_u32_e64 v114, s[2:3], s12, v113
	v_addc_co_u32_e32 v1, vcc, v5, v1, vcc
	v_addc_co_u32_e64 v115, vcc, 0, v2, s[2:3]
	s_lshl_b64 s[14:15], s[6:7], 4
	v_mov_b32_e32 v10, s15
	v_add_co_u32_e32 v4, vcc, s14, v0
	v_addc_co_u32_e32 v5, vcc, v1, v10, vcc
	s_movk_i32 s6, 0x2000
	global_load_dwordx4 v[20:23], v[0:1], off
	global_load_dwordx4 v[24:27], v[4:5], off
	v_add_co_u32_e32 v0, vcc, s6, v114
	s_mul_hi_u32 s6, s0, 0xfffffeb0
	s_mulk_i32 s1, 0xfeb0
	s_sub_i32 s6, s6, s0
	s_add_i32 s1, s6, s1
	s_mulk_i32 s0, 0xfeb0
	v_addc_co_u32_e32 v1, vcc, 0, v115, vcc
	s_lshl_b64 s[16:17], s[0:1], 4
	v_mov_b32_e32 v6, s17
	v_add_co_u32_e32 v8, vcc, s16, v4
	v_addc_co_u32_e32 v9, vcc, v5, v6, vcc
	v_add_co_u32_e32 v18, vcc, s14, v8
	v_addc_co_u32_e32 v19, vcc, v9, v10, vcc
	s_movk_i32 s0, 0x3000
	global_load_dwordx4 v[0:3], v[0:1], off offset:768
	s_nop 0
	global_load_dwordx4 v[28:31], v[8:9], off
	global_load_dwordx4 v[12:15], v113, s[12:13]
	global_load_dwordx4 v[4:7], v113, s[12:13] offset:3584
	v_add_co_u32_e32 v16, vcc, s0, v114
	v_addc_co_u32_e32 v17, vcc, 0, v115, vcc
	global_load_dwordx4 v[8:11], v[16:17], off offset:256
	global_load_dwordx4 v[32:35], v[18:19], off
	s_load_dwordx2 s[6:7], s[4:5], 0x38
	s_movk_i32 s0, 0x70
	s_load_dwordx4 s[8:11], s[10:11], 0x0
	v_cmp_gt_u16_e64 s[0:1], s0, v116
	s_waitcnt vmcnt(5)
	v_mul_f64 v[40:41], v[26:27], v[2:3]
	s_waitcnt vmcnt(3)
	v_mul_f64 v[36:37], v[22:23], v[14:15]
	v_mul_f64 v[38:39], v[20:21], v[14:15]
	;; [unrolled: 1-line block ×3, first 2 shown]
	s_waitcnt vmcnt(2)
	v_mul_f64 v[44:45], v[30:31], v[6:7]
	v_mul_f64 v[46:47], v[28:29], v[6:7]
	s_waitcnt vmcnt(0)
	v_mul_f64 v[48:49], v[34:35], v[10:11]
	v_mul_f64 v[50:51], v[32:33], v[10:11]
	v_fma_f64 v[24:25], v[24:25], v[0:1], v[40:41]
	v_fma_f64 v[20:21], v[20:21], v[12:13], v[36:37]
	v_fma_f64 v[22:23], v[22:23], v[12:13], -v[38:39]
	v_fma_f64 v[26:27], v[26:27], v[0:1], -v[42:43]
	v_fma_f64 v[28:29], v[28:29], v[4:5], v[44:45]
	v_fma_f64 v[30:31], v[30:31], v[4:5], -v[46:47]
	v_fma_f64 v[32:33], v[32:33], v[8:9], v[48:49]
	v_fma_f64 v[34:35], v[34:35], v[8:9], -v[50:51]
	ds_write_b128 v113, v[20:23]
	ds_write_b128 v113, v[24:27] offset:8960
	ds_write_b128 v113, v[28:31] offset:3584
	;; [unrolled: 1-line block ×3, first 2 shown]
	s_and_saveexec_b64 s[18:19], s[0:1]
	s_cbranch_execz .LBB0_3
; %bb.2:
	v_mov_b32_e32 v20, s17
	v_add_co_u32_e32 v26, vcc, s16, v18
	v_addc_co_u32_e32 v27, vcc, v19, v20, vcc
	v_add_co_u32_e32 v22, vcc, 0x1000, v114
	v_addc_co_u32_e32 v23, vcc, 0, v115, vcc
	global_load_dwordx4 v[18:21], v[26:27], off
	v_mov_b32_e32 v28, s15
	global_load_dwordx4 v[22:25], v[22:23], off offset:3072
	v_add_co_u32_e32 v34, vcc, s14, v26
	v_addc_co_u32_e32 v35, vcc, v27, v28, vcc
	global_load_dwordx4 v[26:29], v[16:17], off offset:3840
	global_load_dwordx4 v[30:33], v[34:35], off
	s_waitcnt vmcnt(2)
	v_mul_f64 v[16:17], v[20:21], v[24:25]
	v_mul_f64 v[24:25], v[18:19], v[24:25]
	s_waitcnt vmcnt(0)
	v_mul_f64 v[34:35], v[32:33], v[28:29]
	v_mul_f64 v[28:29], v[30:31], v[28:29]
	v_fma_f64 v[16:17], v[18:19], v[22:23], v[16:17]
	v_fma_f64 v[18:19], v[20:21], v[22:23], -v[24:25]
	v_fma_f64 v[20:21], v[30:31], v[26:27], v[34:35]
	v_fma_f64 v[22:23], v[32:33], v[26:27], -v[28:29]
	ds_write_b128 v113, v[16:19] offset:7168
	ds_write_b128 v113, v[20:23] offset:16128
.LBB0_3:
	s_or_b64 exec, exec, s[18:19]
	s_waitcnt lgkmcnt(0)
	s_barrier
	ds_read_b128 v[16:19], v113
	ds_read_b128 v[20:23], v113 offset:3584
	ds_read_b128 v[36:39], v113 offset:8960
	;; [unrolled: 1-line block ×3, first 2 shown]
                                        ; implicit-def: $vgpr28_vgpr29
                                        ; implicit-def: $vgpr32_vgpr33
	s_and_saveexec_b64 s[14:15], s[0:1]
	s_cbranch_execz .LBB0_5
; %bb.4:
	ds_read_b128 v[28:31], v113 offset:7168
	ds_read_b128 v[32:35], v113 offset:16128
.LBB0_5:
	s_or_b64 exec, exec, s[14:15]
	s_waitcnt lgkmcnt(1)
	v_add_f64 v[36:37], v[16:17], -v[36:37]
	v_add_f64 v[38:39], v[18:19], -v[38:39]
	s_waitcnt lgkmcnt(0)
	v_add_f64 v[40:41], v[20:21], -v[24:25]
	v_add_f64 v[42:43], v[22:23], -v[26:27]
	;; [unrolled: 1-line block ×4, first 2 shown]
	s_load_dwordx2 s[14:15], s[4:5], 0x8
	v_lshlrev_b32_e32 v56, 1, v116
	v_fma_f64 v[16:17], v[16:17], 2.0, -v[36:37]
	v_fma_f64 v[18:19], v[18:19], 2.0, -v[38:39]
	;; [unrolled: 1-line block ×6, first 2 shown]
	s_movk_i32 s4, 0x1c0
	v_add_co_u32_e32 v44, vcc, s4, v116
	v_lshlrev_b32_e32 v121, 5, v116
	v_add_u32_e32 v57, 0x1c0, v56
	s_waitcnt lgkmcnt(0)
	s_barrier
	ds_write_b128 v121, v[16:19]
	ds_write_b128 v121, v[36:39] offset:16
	v_lshlrev_b32_e32 v122, 4, v57
	v_lshlrev_b32_e32 v16, 4, v56
	;; [unrolled: 1-line block ×3, first 2 shown]
	ds_write_b128 v16, v[32:35] offset:7168
	ds_write_b128 v122, v[40:43] offset:16
	s_and_saveexec_b64 s[4:5], s[0:1]
	s_cbranch_execz .LBB0_7
; %bb.6:
	ds_write_b128 v120, v[20:23]
	ds_write_b128 v120, v[24:27] offset:16
.LBB0_7:
	s_or_b64 exec, exec, s[4:5]
	s_waitcnt lgkmcnt(0)
	s_barrier
	ds_read_b128 v[32:35], v113
	ds_read_b128 v[36:39], v113 offset:3584
	ds_read_b128 v[40:43], v113 offset:8960
	;; [unrolled: 1-line block ×3, first 2 shown]
	s_and_saveexec_b64 s[4:5], s[0:1]
	s_cbranch_execz .LBB0_9
; %bb.8:
	ds_read_b128 v[20:23], v113 offset:7168
	ds_read_b128 v[24:27], v113 offset:16128
.LBB0_9:
	s_or_b64 exec, exec, s[4:5]
	v_and_b32_e32 v118, 1, v116
	v_lshlrev_b32_e32 v16, 4, v118
	global_load_dwordx4 v[16:19], v16, s[14:15]
	s_movk_i32 s4, 0x1fc
	s_movk_i32 s5, 0x3fc
	v_lshlrev_b32_e32 v117, 1, v44
	s_waitcnt vmcnt(0) lgkmcnt(0)
	s_barrier
	v_mul_f64 v[49:50], v[30:31], v[18:19]
	v_mul_f64 v[51:52], v[28:29], v[18:19]
	;; [unrolled: 1-line block ×6, first 2 shown]
	v_fma_f64 v[28:29], v[28:29], v[16:17], -v[49:50]
	v_fma_f64 v[30:31], v[30:31], v[16:17], v[51:52]
	v_fma_f64 v[24:25], v[24:25], v[16:17], -v[53:54]
	v_fma_f64 v[26:27], v[26:27], v[16:17], v[58:59]
	;; [unrolled: 2-line block ×3, first 2 shown]
	v_and_or_b32 v49, v56, s4, v118
	v_and_or_b32 v50, v57, s5, v118
	v_add_f64 v[45:46], v[36:37], -v[28:29]
	v_add_f64 v[47:48], v[38:39], -v[30:31]
	;; [unrolled: 1-line block ×6, first 2 shown]
	v_lshlrev_b32_e32 v126, 4, v49
	v_lshlrev_b32_e32 v125, 4, v50
	v_fma_f64 v[36:37], v[36:37], 2.0, -v[45:46]
	v_fma_f64 v[38:39], v[38:39], 2.0, -v[47:48]
	;; [unrolled: 1-line block ×6, first 2 shown]
	ds_write_b128 v126, v[40:43] offset:32
	ds_write_b128 v126, v[32:35]
	ds_write_b128 v125, v[36:39]
	ds_write_b128 v125, v[45:48] offset:32
	s_and_saveexec_b64 s[4:5], s[0:1]
	s_cbranch_execz .LBB0_11
; %bb.10:
	s_movk_i32 s12, 0x7fc
	v_and_or_b32 v20, v117, s12, v118
	v_lshlrev_b32_e32 v20, 4, v20
	ds_write_b128 v20, v[24:27]
	ds_write_b128 v20, v[28:31] offset:32
.LBB0_11:
	s_or_b64 exec, exec, s[4:5]
	s_waitcnt lgkmcnt(0)
	s_barrier
	ds_read_b128 v[36:39], v113
	ds_read_b128 v[40:43], v113 offset:3584
	ds_read_b128 v[44:47], v113 offset:8960
	;; [unrolled: 1-line block ×3, first 2 shown]
	s_and_saveexec_b64 s[4:5], s[0:1]
	s_cbranch_execz .LBB0_13
; %bb.12:
	ds_read_b128 v[24:27], v113 offset:7168
	ds_read_b128 v[28:31], v113 offset:16128
.LBB0_13:
	s_or_b64 exec, exec, s[4:5]
	v_and_b32_e32 v119, 3, v116
	v_lshlrev_b32_e32 v20, 4, v119
	global_load_dwordx4 v[20:23], v20, s[14:15] offset:32
	s_movk_i32 s4, 0x1f8
	s_movk_i32 s5, 0x3f8
	s_waitcnt vmcnt(0) lgkmcnt(0)
	s_barrier
	v_mul_f64 v[52:53], v[34:35], v[22:23]
	v_mul_f64 v[54:55], v[32:33], v[22:23]
	;; [unrolled: 1-line block ×6, first 2 shown]
	v_fma_f64 v[32:33], v[32:33], v[20:21], -v[52:53]
	v_fma_f64 v[34:35], v[34:35], v[20:21], v[54:55]
	v_fma_f64 v[28:29], v[28:29], v[20:21], -v[58:59]
	v_fma_f64 v[30:31], v[30:31], v[20:21], v[60:61]
	;; [unrolled: 2-line block ×3, first 2 shown]
	v_and_or_b32 v52, v56, s4, v119
	v_and_or_b32 v53, v57, s5, v119
	v_add_f64 v[48:49], v[40:41], -v[32:33]
	v_add_f64 v[50:51], v[42:43], -v[34:35]
	;; [unrolled: 1-line block ×6, first 2 shown]
	v_lshlrev_b32_e32 v128, 4, v52
	v_lshlrev_b32_e32 v127, 4, v53
	v_fma_f64 v[40:41], v[40:41], 2.0, -v[48:49]
	v_fma_f64 v[42:43], v[42:43], 2.0, -v[50:51]
	;; [unrolled: 1-line block ×6, first 2 shown]
	ds_write_b128 v128, v[44:47] offset:64
	ds_write_b128 v128, v[36:39]
	ds_write_b128 v127, v[40:43]
	ds_write_b128 v127, v[48:51] offset:64
	s_and_saveexec_b64 s[4:5], s[0:1]
	s_cbranch_execz .LBB0_15
; %bb.14:
	s_movk_i32 s12, 0x7f8
	v_and_or_b32 v24, v117, s12, v119
	v_lshlrev_b32_e32 v24, 4, v24
	ds_write_b128 v24, v[28:31]
	ds_write_b128 v24, v[32:35] offset:64
.LBB0_15:
	s_or_b64 exec, exec, s[4:5]
	s_waitcnt lgkmcnt(0)
	s_barrier
	ds_read_b128 v[36:39], v113
	ds_read_b128 v[40:43], v113 offset:3584
	ds_read_b128 v[48:51], v113 offset:8960
	;; [unrolled: 1-line block ×3, first 2 shown]
	s_and_saveexec_b64 s[4:5], s[0:1]
	s_cbranch_execz .LBB0_17
; %bb.16:
	ds_read_b128 v[28:31], v113 offset:7168
	ds_read_b128 v[32:35], v113 offset:16128
.LBB0_17:
	s_or_b64 exec, exec, s[4:5]
	v_and_b32_e32 v123, 7, v116
	v_lshlrev_b32_e32 v24, 4, v123
	global_load_dwordx4 v[24:27], v24, s[14:15] offset:96
	s_movk_i32 s4, 0x1f0
	s_movk_i32 s5, 0x3f0
	s_waitcnt vmcnt(0) lgkmcnt(0)
	s_barrier
	v_mul_f64 v[58:59], v[46:47], v[26:27]
	v_mul_f64 v[60:61], v[44:45], v[26:27]
	;; [unrolled: 1-line block ×6, first 2 shown]
	v_fma_f64 v[44:45], v[44:45], v[24:25], -v[58:59]
	v_fma_f64 v[46:47], v[46:47], v[24:25], v[60:61]
	v_fma_f64 v[32:33], v[32:33], v[24:25], -v[62:63]
	v_fma_f64 v[34:35], v[34:35], v[24:25], v[64:65]
	;; [unrolled: 2-line block ×3, first 2 shown]
	v_and_or_b32 v58, v56, s4, v123
	v_and_or_b32 v59, v57, s5, v123
	v_add_f64 v[52:53], v[40:41], -v[44:45]
	v_add_f64 v[54:55], v[42:43], -v[46:47]
	;; [unrolled: 1-line block ×6, first 2 shown]
	v_lshlrev_b32_e32 v130, 4, v58
	v_lshlrev_b32_e32 v129, 4, v59
	v_fma_f64 v[40:41], v[40:41], 2.0, -v[52:53]
	v_fma_f64 v[42:43], v[42:43], 2.0, -v[54:55]
	;; [unrolled: 1-line block ×6, first 2 shown]
	ds_write_b128 v130, v[48:51] offset:128
	ds_write_b128 v130, v[36:39]
	ds_write_b128 v129, v[40:43]
	ds_write_b128 v129, v[52:55] offset:128
	s_and_saveexec_b64 s[4:5], s[0:1]
	s_cbranch_execz .LBB0_19
; %bb.18:
	s_movk_i32 s12, 0x7f0
	v_and_or_b32 v28, v117, s12, v123
	v_lshlrev_b32_e32 v28, 4, v28
	ds_write_b128 v28, v[32:35]
	ds_write_b128 v28, v[44:47] offset:128
.LBB0_19:
	s_or_b64 exec, exec, s[4:5]
	s_waitcnt lgkmcnt(0)
	s_barrier
	ds_read_b128 v[40:43], v113
	ds_read_b128 v[36:39], v113 offset:3584
	ds_read_b128 v[52:55], v113 offset:8960
	;; [unrolled: 1-line block ×3, first 2 shown]
	s_and_saveexec_b64 s[4:5], s[0:1]
	s_cbranch_execz .LBB0_21
; %bb.20:
	ds_read_b128 v[32:35], v113 offset:7168
	ds_read_b128 v[44:47], v113 offset:16128
.LBB0_21:
	s_or_b64 exec, exec, s[4:5]
	v_and_b32_e32 v124, 15, v116
	v_lshlrev_b32_e32 v28, 4, v124
	global_load_dwordx4 v[28:31], v28, s[14:15] offset:224
	s_movk_i32 s4, 0x1e0
	s_waitcnt vmcnt(0) lgkmcnt(0)
	s_barrier
	v_mul_f64 v[58:59], v[54:55], v[30:31]
	v_fma_f64 v[58:59], v[52:53], v[28:29], -v[58:59]
	v_mul_f64 v[52:53], v[52:53], v[30:31]
	v_fma_f64 v[52:53], v[54:55], v[28:29], v[52:53]
	v_mul_f64 v[54:55], v[50:51], v[30:31]
	v_fma_f64 v[54:55], v[48:49], v[28:29], -v[54:55]
	v_mul_f64 v[48:49], v[48:49], v[30:31]
	v_fma_f64 v[50:51], v[50:51], v[28:29], v[48:49]
	v_mul_f64 v[48:49], v[46:47], v[30:31]
	v_add_f64 v[50:51], v[38:39], -v[50:51]
	v_fma_f64 v[60:61], v[44:45], v[28:29], -v[48:49]
	v_mul_f64 v[44:45], v[44:45], v[30:31]
	v_add_f64 v[48:49], v[36:37], -v[54:55]
	v_fma_f64 v[38:39], v[38:39], 2.0, -v[50:51]
	v_add_f64 v[72:73], v[32:33], -v[60:61]
	v_fma_f64 v[62:63], v[46:47], v[28:29], v[44:45]
	v_add_f64 v[44:45], v[40:41], -v[58:59]
	v_add_f64 v[46:47], v[42:43], -v[52:53]
	v_fma_f64 v[36:37], v[36:37], 2.0, -v[48:49]
	v_and_or_b32 v52, v56, s4, v124
	v_lshlrev_b32_e32 v131, 4, v52
	s_movk_i32 s4, 0x3e0
	v_add_f64 v[74:75], v[34:35], -v[62:63]
	v_fma_f64 v[40:41], v[40:41], 2.0, -v[44:45]
	v_fma_f64 v[42:43], v[42:43], 2.0, -v[46:47]
	ds_write_b128 v131, v[40:43]
	ds_write_b128 v131, v[44:47] offset:256
	v_and_or_b32 v40, v57, s4, v124
	v_lshlrev_b32_e32 v132, 4, v40
	ds_write_b128 v132, v[36:39]
	ds_write_b128 v132, v[48:51] offset:256
	s_and_saveexec_b64 s[4:5], s[0:1]
	s_cbranch_execz .LBB0_23
; %bb.22:
	v_fma_f64 v[34:35], v[34:35], 2.0, -v[74:75]
	v_fma_f64 v[32:33], v[32:33], 2.0, -v[72:73]
	s_movk_i32 s12, 0x7e0
	v_and_or_b32 v36, v117, s12, v124
	v_lshlrev_b32_e32 v36, 4, v36
	ds_write_b128 v36, v[32:35]
	ds_write_b128 v36, v[72:75] offset:256
.LBB0_23:
	s_or_b64 exec, exec, s[4:5]
	v_and_b32_e32 v96, 31, v116
	v_lshlrev_b32_e32 v68, 6, v96
	s_waitcnt lgkmcnt(0)
	s_barrier
	ds_read_b128 v[48:51], v113
	ds_read_b128 v[52:55], v113 offset:3584
	ds_read_b128 v[56:59], v113 offset:7168
	ds_read_b128 v[60:63], v113 offset:10752
	ds_read_b128 v[64:67], v113 offset:14336
	global_load_dwordx4 v[32:35], v68, s[14:15] offset:528
	global_load_dwordx4 v[36:39], v68, s[14:15] offset:512
	;; [unrolled: 1-line block ×4, first 2 shown]
	s_mov_b32 s4, 0x134454ff
	s_mov_b32 s5, 0x3fee6f0e
	;; [unrolled: 1-line block ×10, first 2 shown]
	s_waitcnt vmcnt(0) lgkmcnt(0)
	s_barrier
	v_mul_f64 v[68:69], v[54:55], v[46:47]
	v_fma_f64 v[68:69], v[52:53], v[44:45], -v[68:69]
	v_mul_f64 v[52:53], v[52:53], v[46:47]
	v_fma_f64 v[52:53], v[54:55], v[44:45], v[52:53]
	v_mul_f64 v[54:55], v[58:59], v[42:43]
	v_fma_f64 v[54:55], v[56:57], v[40:41], -v[54:55]
	v_mul_f64 v[56:57], v[56:57], v[42:43]
	v_add_f64 v[80:81], v[68:69], -v[54:55]
	v_fma_f64 v[56:57], v[58:59], v[40:41], v[56:57]
	v_mul_f64 v[58:59], v[62:63], v[38:39]
	v_fma_f64 v[58:59], v[60:61], v[36:37], -v[58:59]
	v_mul_f64 v[60:61], v[60:61], v[38:39]
	v_fma_f64 v[60:61], v[62:63], v[36:37], v[60:61]
	v_mul_f64 v[62:63], v[66:67], v[34:35]
	v_add_f64 v[82:83], v[56:57], -v[60:61]
	v_fma_f64 v[62:63], v[64:65], v[32:33], -v[62:63]
	v_mul_f64 v[64:65], v[64:65], v[34:35]
	v_add_f64 v[84:85], v[62:63], -v[58:59]
	v_fma_f64 v[64:65], v[66:67], v[32:33], v[64:65]
	v_add_f64 v[66:67], v[48:49], v[68:69]
	v_add_f64 v[84:85], v[80:81], v[84:85]
	v_add_f64 v[70:71], v[52:53], -v[64:65]
	v_add_f64 v[66:67], v[66:67], v[54:55]
	v_add_f64 v[66:67], v[66:67], v[58:59]
	;; [unrolled: 1-line block ×4, first 2 shown]
	v_fma_f64 v[66:67], v[66:67], -0.5, v[48:49]
	v_fma_f64 v[78:79], v[70:71], s[4:5], v[66:67]
	v_fma_f64 v[66:67], v[70:71], s[20:21], v[66:67]
	;; [unrolled: 1-line block ×6, first 2 shown]
	v_add_f64 v[66:67], v[68:69], v[62:63]
	v_add_f64 v[78:79], v[54:55], -v[68:69]
	v_add_f64 v[84:85], v[58:59], -v[62:63]
	;; [unrolled: 1-line block ×5, first 2 shown]
	v_fma_f64 v[48:49], v[66:67], -0.5, v[48:49]
	v_add_f64 v[78:79], v[78:79], v[84:85]
	v_fma_f64 v[66:67], v[82:83], s[20:21], v[48:49]
	v_fma_f64 v[48:49], v[82:83], s[4:5], v[48:49]
	;; [unrolled: 1-line block ×6, first 2 shown]
	v_add_f64 v[48:49], v[50:51], v[52:53]
	v_add_f64 v[48:49], v[48:49], v[56:57]
	;; [unrolled: 1-line block ×5, first 2 shown]
	v_fma_f64 v[48:49], v[48:49], -0.5, v[50:51]
	v_fma_f64 v[66:67], v[62:63], s[20:21], v[48:49]
	v_fma_f64 v[48:49], v[62:63], s[4:5], v[48:49]
	;; [unrolled: 1-line block ×3, first 2 shown]
	v_add_f64 v[66:67], v[52:53], -v[56:57]
	v_fma_f64 v[48:49], v[54:55], s[16:17], v[48:49]
	v_add_f64 v[66:67], v[66:67], v[68:69]
	v_fma_f64 v[90:91], v[66:67], s[18:19], v[48:49]
	v_add_f64 v[48:49], v[52:53], v[64:65]
	v_add_f64 v[52:53], v[56:57], -v[52:53]
	v_add_f64 v[56:57], v[60:61], -v[64:65]
	v_fma_f64 v[82:83], v[66:67], s[18:19], v[58:59]
	v_fma_f64 v[48:49], v[48:49], -0.5, v[50:51]
	v_add_f64 v[52:53], v[52:53], v[56:57]
	v_fma_f64 v[50:51], v[54:55], s[4:5], v[48:49]
	v_fma_f64 v[48:49], v[54:55], s[20:21], v[48:49]
	s_movk_i32 s4, 0xa0
	v_cmp_gt_u16_e64 s[4:5], s4, v116
	v_fma_f64 v[50:51], v[62:63], s[22:23], v[50:51]
	v_fma_f64 v[48:49], v[62:63], s[16:17], v[48:49]
	;; [unrolled: 1-line block ×4, first 2 shown]
	v_lshrrev_b32_e32 v48, 5, v116
	v_mul_u32_u24_e32 v48, 0xa0, v48
	v_or_b32_e32 v48, v48, v96
	v_lshlrev_b32_e32 v133, 4, v48
	ds_write_b128 v133, v[76:79]
	ds_write_b128 v133, v[80:83] offset:512
	ds_write_b128 v133, v[84:87] offset:1024
	ds_write_b128 v133, v[92:95] offset:1536
	ds_write_b128 v133, v[88:91] offset:2048
	s_waitcnt lgkmcnt(0)
	s_barrier
	s_waitcnt lgkmcnt(0)
                                        ; implicit-def: $vgpr96_vgpr97
	s_and_saveexec_b64 s[16:17], s[4:5]
	s_cbranch_execz .LBB0_25
; %bb.24:
	ds_read_b128 v[76:79], v113
	ds_read_b128 v[80:83], v113 offset:2560
	ds_read_b128 v[84:87], v113 offset:5120
	;; [unrolled: 1-line block ×6, first 2 shown]
.LBB0_25:
	s_or_b64 exec, exec, s[16:17]
	v_add_u32_e32 v48, 0xffffff60, v116
	v_cndmask_b32_e64 v48, v48, v116, s[4:5]
	v_mul_hi_i32_i24_e32 v49, 0x60, v48
	v_mul_i32_i24_e32 v48, 0x60, v48
	v_mov_b32_e32 v50, s15
	v_add_co_u32_e32 v101, vcc, s14, v48
	v_addc_co_u32_e32 v102, vcc, v50, v49, vcc
	global_load_dwordx4 v[56:59], v[101:102], off offset:2528
	global_load_dwordx4 v[60:63], v[101:102], off offset:2544
	;; [unrolled: 1-line block ×6, first 2 shown]
	s_mov_b32 s16, 0x37e14327
	s_mov_b32 s14, 0x36b3c0b5
	;; [unrolled: 1-line block ×16, first 2 shown]
	s_waitcnt vmcnt(5) lgkmcnt(5)
	v_mul_f64 v[101:102], v[82:83], v[58:59]
	v_mul_f64 v[103:104], v[80:81], v[58:59]
	s_waitcnt vmcnt(4) lgkmcnt(4)
	v_mul_f64 v[105:106], v[86:87], v[62:63]
	v_mul_f64 v[107:108], v[84:85], v[62:63]
	;; [unrolled: 3-line block ×3, first 2 shown]
	s_waitcnt vmcnt(0)
	v_mul_f64 v[142:143], v[74:75], v[70:71]
	v_mul_f64 v[144:145], v[72:73], v[70:71]
	;; [unrolled: 1-line block ×6, first 2 shown]
	v_fma_f64 v[80:81], v[80:81], v[56:57], -v[101:102]
	v_fma_f64 v[82:83], v[82:83], v[56:57], v[103:104]
	v_fma_f64 v[84:85], v[84:85], v[60:61], -v[105:106]
	v_fma_f64 v[86:87], v[86:87], v[60:61], v[107:108]
	v_fma_f64 v[96:97], v[96:97], v[64:65], -v[138:139]
	v_fma_f64 v[98:99], v[98:99], v[64:65], v[140:141]
	v_fma_f64 v[72:73], v[72:73], v[68:69], -v[142:143]
	v_fma_f64 v[74:75], v[74:75], v[68:69], v[144:145]
	v_fma_f64 v[92:93], v[92:93], v[52:53], -v[109:110]
	v_fma_f64 v[94:95], v[94:95], v[52:53], v[111:112]
	v_fma_f64 v[88:89], v[88:89], v[48:49], -v[134:135]
	v_fma_f64 v[90:91], v[90:91], v[48:49], v[136:137]
	v_add_f64 v[101:102], v[80:81], v[96:97]
	v_add_f64 v[103:104], v[82:83], v[98:99]
	v_add_f64 v[80:81], v[80:81], -v[96:97]
	v_add_f64 v[82:83], v[82:83], -v[98:99]
	v_add_f64 v[96:97], v[84:85], v[72:73]
	v_add_f64 v[98:99], v[86:87], v[74:75]
	v_add_f64 v[72:73], v[84:85], -v[72:73]
	v_add_f64 v[74:75], v[86:87], -v[74:75]
	;; [unrolled: 4-line block ×4, first 2 shown]
	v_add_f64 v[101:102], v[101:102], -v[84:85]
	v_add_f64 v[103:104], v[103:104], -v[86:87]
	;; [unrolled: 1-line block ×4, first 2 shown]
	v_add_f64 v[109:110], v[88:89], v[72:73]
	v_add_f64 v[111:112], v[90:91], v[74:75]
	v_add_f64 v[134:135], v[88:89], -v[72:73]
	v_add_f64 v[136:137], v[90:91], -v[74:75]
	;; [unrolled: 1-line block ×4, first 2 shown]
	v_add_f64 v[92:93], v[84:85], v[92:93]
	v_add_f64 v[94:95], v[86:87], v[94:95]
	v_add_f64 v[88:89], v[80:81], -v[88:89]
	v_add_f64 v[90:91], v[82:83], -v[90:91]
	v_add_f64 v[80:81], v[109:110], v[80:81]
	v_add_f64 v[82:83], v[111:112], v[82:83]
	v_mul_f64 v[101:102], v[101:102], s[16:17]
	v_mul_f64 v[103:104], v[103:104], s[16:17]
	;; [unrolled: 1-line block ×8, first 2 shown]
	v_add_f64 v[84:85], v[76:77], v[92:93]
	v_add_f64 v[86:87], v[78:79], v[94:95]
	v_fma_f64 v[76:77], v[96:97], s[14:15], v[101:102]
	v_fma_f64 v[78:79], v[98:99], s[14:15], v[103:104]
	v_fma_f64 v[98:99], v[105:106], s[24:25], -v[109:110]
	v_fma_f64 v[109:110], v[107:108], s[24:25], -v[111:112]
	s_mov_b32 s25, 0xbfe77f67
	v_fma_f64 v[96:97], v[88:89], s[26:27], v[134:135]
	v_fma_f64 v[111:112], v[90:91], s[26:27], v[136:137]
	s_mov_b32 s27, 0xbfd5d0dc
	v_fma_f64 v[72:73], v[72:73], s[18:19], -v[134:135]
	v_fma_f64 v[74:75], v[74:75], s[18:19], -v[136:137]
	;; [unrolled: 1-line block ×6, first 2 shown]
	v_fma_f64 v[136:137], v[92:93], s[20:21], v[84:85]
	v_fma_f64 v[138:139], v[94:95], s[20:21], v[86:87]
	;; [unrolled: 1-line block ×8, first 2 shown]
	v_add_f64 v[94:95], v[98:99], v[136:137]
	v_add_f64 v[111:112], v[109:110], v[138:139]
	;; [unrolled: 1-line block ×7, first 2 shown]
	v_add_f64 v[78:79], v[111:112], -v[107:108]
	v_add_f64 v[80:81], v[98:99], -v[96:97]
	v_add_f64 v[82:83], v[103:104], v[109:110]
	v_add_f64 v[72:73], v[101:102], -v[88:89]
	v_add_f64 v[74:75], v[92:93], v[105:106]
	s_and_saveexec_b64 s[14:15], s[4:5]
	s_cbranch_execz .LBB0_27
; %bb.26:
	v_add_f64 v[107:108], v[107:108], v[111:112]
	v_add_f64 v[103:104], v[109:110], -v[103:104]
	v_add_f64 v[111:112], v[105:106], -v[92:93]
	v_add_f64 v[109:110], v[88:89], v[101:102]
	v_add_f64 v[101:102], v[96:97], v[98:99]
	v_add_f64 v[105:106], v[94:95], -v[90:91]
	ds_write_b128 v113, v[84:87]
	ds_write_b128 v113, v[109:112] offset:2560
	ds_write_b128 v113, v[101:104] offset:5120
	;; [unrolled: 1-line block ×6, first 2 shown]
.LBB0_27:
	s_or_b64 exec, exec, s[14:15]
	v_mov_b32_e32 v84, s13
	v_addc_co_u32_e64 v98, vcc, 0, v84, s[2:3]
	s_movk_i32 s2, 0x4600
	v_add_co_u32_e32 v84, vcc, s2, v114
	s_movk_i32 s12, 0x4000
	s_mov_b64 s[2:3], vcc
	v_add_co_u32_e32 v85, vcc, s12, v114
	v_addc_co_u32_e32 v86, vcc, 0, v98, vcc
	s_movk_i32 s12, 0x6000
	v_add_co_u32_e32 v90, vcc, s12, v114
	v_addc_co_u32_e32 v91, vcc, 0, v98, vcc
	s_movk_i32 s12, 0x7000
	v_add_co_u32_e32 v94, vcc, s12, v114
	s_waitcnt lgkmcnt(0)
	s_barrier
	global_load_dwordx4 v[90:93], v[90:91], off offset:2304
	v_addc_co_u32_e32 v95, vcc, 0, v98, vcc
	global_load_dwordx4 v[86:89], v[85:86], off offset:1536
	s_nop 0
	global_load_dwordx4 v[94:97], v[94:95], off offset:1792
	v_addc_co_u32_e64 v85, vcc, 0, v98, s[2:3]
	global_load_dwordx4 v[101:104], v[84:85], off offset:3584
	ds_read_b128 v[105:108], v113 offset:8960
	ds_read_b128 v[109:112], v113 offset:12544
	ds_read_b128 v[134:137], v113
	ds_read_b128 v[138:141], v113 offset:3584
	s_waitcnt vmcnt(3) lgkmcnt(3)
	v_mul_f64 v[98:99], v[107:108], v[92:93]
	v_mul_f64 v[92:93], v[105:106], v[92:93]
	s_waitcnt vmcnt(2) lgkmcnt(1)
	v_mul_f64 v[144:145], v[136:137], v[88:89]
	v_mul_f64 v[146:147], v[134:135], v[88:89]
	s_waitcnt vmcnt(1)
	v_mul_f64 v[142:143], v[111:112], v[96:97]
	v_mul_f64 v[152:153], v[109:110], v[96:97]
	s_waitcnt vmcnt(0) lgkmcnt(0)
	v_mul_f64 v[148:149], v[140:141], v[103:104]
	v_mul_f64 v[150:151], v[138:139], v[103:104]
	v_fma_f64 v[88:89], v[105:106], v[90:91], -v[98:99]
	v_fma_f64 v[90:91], v[107:108], v[90:91], v[92:93]
	v_fma_f64 v[96:97], v[134:135], v[86:87], -v[144:145]
	v_fma_f64 v[98:99], v[136:137], v[86:87], v[146:147]
	v_fma_f64 v[92:93], v[109:110], v[94:95], -v[142:143]
	v_fma_f64 v[94:95], v[111:112], v[94:95], v[152:153]
	v_fma_f64 v[103:104], v[138:139], v[101:102], -v[148:149]
	v_fma_f64 v[105:106], v[140:141], v[101:102], v[150:151]
	ds_write_b128 v113, v[88:91] offset:8960
	ds_write_b128 v113, v[96:99]
	ds_write_b128 v113, v[103:106] offset:3584
	ds_write_b128 v113, v[92:95] offset:12544
	s_and_saveexec_b64 s[2:3], s[0:1]
	s_cbranch_execz .LBB0_29
; %bb.28:
	v_add_co_u32_e32 v86, vcc, 0x1000, v84
	v_addc_co_u32_e32 v87, vcc, 0, v85, vcc
	s_movk_i32 s12, 0x3000
	v_add_co_u32_e32 v84, vcc, s12, v84
	global_load_dwordx4 v[86:89], v[86:87], off offset:3072
	v_addc_co_u32_e32 v85, vcc, 0, v85, vcc
	global_load_dwordx4 v[90:93], v[84:85], off offset:3840
	ds_read_b128 v[94:97], v113 offset:7168
	ds_read_b128 v[101:104], v113 offset:16128
	s_waitcnt vmcnt(1) lgkmcnt(1)
	v_mul_f64 v[84:85], v[96:97], v[88:89]
	v_mul_f64 v[88:89], v[94:95], v[88:89]
	s_waitcnt vmcnt(0) lgkmcnt(0)
	v_mul_f64 v[98:99], v[103:104], v[92:93]
	v_mul_f64 v[92:93], v[101:102], v[92:93]
	v_fma_f64 v[84:85], v[94:95], v[86:87], -v[84:85]
	v_fma_f64 v[86:87], v[96:97], v[86:87], v[88:89]
	v_fma_f64 v[88:89], v[101:102], v[90:91], -v[98:99]
	v_fma_f64 v[90:91], v[103:104], v[90:91], v[92:93]
	ds_write_b128 v113, v[84:87] offset:7168
	ds_write_b128 v113, v[88:91] offset:16128
.LBB0_29:
	s_or_b64 exec, exec, s[2:3]
	s_waitcnt lgkmcnt(0)
	s_barrier
	ds_read_b128 v[84:87], v113
	ds_read_b128 v[88:91], v113 offset:3584
	ds_read_b128 v[96:99], v113 offset:8960
	;; [unrolled: 1-line block ×3, first 2 shown]
	s_and_saveexec_b64 s[2:3], s[0:1]
	s_cbranch_execz .LBB0_31
; %bb.30:
	ds_read_b128 v[76:79], v113 offset:7168
	ds_read_b128 v[80:83], v113 offset:16128
.LBB0_31:
	s_or_b64 exec, exec, s[2:3]
	s_waitcnt lgkmcnt(0)
	v_add_f64 v[80:81], v[76:77], -v[80:81]
	v_add_f64 v[82:83], v[78:79], -v[82:83]
	;; [unrolled: 1-line block ×6, first 2 shown]
	s_barrier
	v_fma_f64 v[76:77], v[76:77], 2.0, -v[80:81]
	v_fma_f64 v[78:79], v[78:79], 2.0, -v[82:83]
	;; [unrolled: 1-line block ×6, first 2 shown]
	ds_write_b128 v121, v[96:99] offset:16
	ds_write_b128 v121, v[84:87]
	ds_write_b128 v122, v[88:91]
	ds_write_b128 v122, v[92:95] offset:16
	s_and_saveexec_b64 s[2:3], s[0:1]
	s_cbranch_execz .LBB0_33
; %bb.32:
	ds_write_b128 v120, v[76:79]
	ds_write_b128 v120, v[80:83] offset:16
.LBB0_33:
	s_or_b64 exec, exec, s[2:3]
	s_waitcnt lgkmcnt(0)
	s_barrier
	ds_read_b128 v[84:87], v113
	ds_read_b128 v[88:91], v113 offset:3584
	ds_read_b128 v[96:99], v113 offset:8960
	ds_read_b128 v[92:95], v113 offset:12544
	s_and_saveexec_b64 s[2:3], s[0:1]
	s_cbranch_execz .LBB0_35
; %bb.34:
	ds_read_b128 v[76:79], v113 offset:7168
	ds_read_b128 v[80:83], v113 offset:16128
.LBB0_35:
	s_or_b64 exec, exec, s[2:3]
	s_waitcnt lgkmcnt(1)
	v_mul_f64 v[101:102], v[18:19], v[98:99]
	v_mul_f64 v[103:104], v[18:19], v[96:97]
	s_waitcnt lgkmcnt(0)
	v_mul_f64 v[105:106], v[18:19], v[94:95]
	v_mul_f64 v[107:108], v[18:19], v[92:93]
	v_mul_f64 v[109:110], v[18:19], v[82:83]
	v_mul_f64 v[18:19], v[18:19], v[80:81]
	s_barrier
	v_fma_f64 v[96:97], v[16:17], v[96:97], v[101:102]
	v_fma_f64 v[98:99], v[16:17], v[98:99], -v[103:104]
	v_fma_f64 v[101:102], v[16:17], v[92:93], v[105:106]
	v_fma_f64 v[103:104], v[16:17], v[94:95], -v[107:108]
	v_fma_f64 v[80:81], v[16:17], v[80:81], v[109:110]
	v_fma_f64 v[16:17], v[16:17], v[82:83], -v[18:19]
	v_add_f64 v[92:93], v[84:85], -v[96:97]
	v_add_f64 v[94:95], v[86:87], -v[98:99]
	v_add_f64 v[96:97], v[88:89], -v[101:102]
	v_add_f64 v[98:99], v[90:91], -v[103:104]
	v_add_f64 v[80:81], v[76:77], -v[80:81]
	v_add_f64 v[82:83], v[78:79], -v[16:17]
	v_fma_f64 v[84:85], v[84:85], 2.0, -v[92:93]
	v_fma_f64 v[86:87], v[86:87], 2.0, -v[94:95]
	v_fma_f64 v[88:89], v[88:89], 2.0, -v[96:97]
	v_fma_f64 v[90:91], v[90:91], 2.0, -v[98:99]
	v_fma_f64 v[16:17], v[76:77], 2.0, -v[80:81]
	v_fma_f64 v[18:19], v[78:79], 2.0, -v[82:83]
	ds_write_b128 v126, v[92:95] offset:32
	ds_write_b128 v126, v[84:87]
	ds_write_b128 v125, v[88:91]
	ds_write_b128 v125, v[96:99] offset:32
	s_and_saveexec_b64 s[2:3], s[0:1]
	s_cbranch_execz .LBB0_37
; %bb.36:
	s_movk_i32 s12, 0x7fc
	v_and_or_b32 v76, v117, s12, v118
	v_lshlrev_b32_e32 v76, 4, v76
	ds_write_b128 v76, v[16:19]
	ds_write_b128 v76, v[80:83] offset:32
.LBB0_37:
	s_or_b64 exec, exec, s[2:3]
	s_waitcnt lgkmcnt(0)
	s_barrier
	ds_read_b128 v[76:79], v113
	ds_read_b128 v[84:87], v113 offset:3584
	ds_read_b128 v[92:95], v113 offset:8960
	ds_read_b128 v[88:91], v113 offset:12544
	s_and_saveexec_b64 s[2:3], s[0:1]
	s_cbranch_execz .LBB0_39
; %bb.38:
	ds_read_b128 v[16:19], v113 offset:7168
	ds_read_b128 v[80:83], v113 offset:16128
.LBB0_39:
	s_or_b64 exec, exec, s[2:3]
	s_waitcnt lgkmcnt(1)
	v_mul_f64 v[96:97], v[22:23], v[94:95]
	v_mul_f64 v[98:99], v[22:23], v[92:93]
	s_waitcnt lgkmcnt(0)
	v_mul_f64 v[101:102], v[22:23], v[90:91]
	v_mul_f64 v[103:104], v[22:23], v[88:89]
	v_mul_f64 v[105:106], v[22:23], v[82:83]
	v_mul_f64 v[22:23], v[22:23], v[80:81]
	s_barrier
	v_fma_f64 v[92:93], v[20:21], v[92:93], v[96:97]
	v_fma_f64 v[94:95], v[20:21], v[94:95], -v[98:99]
	v_fma_f64 v[88:89], v[20:21], v[88:89], v[101:102]
	v_fma_f64 v[90:91], v[20:21], v[90:91], -v[103:104]
	v_fma_f64 v[96:97], v[20:21], v[80:81], v[105:106]
	v_fma_f64 v[22:23], v[20:21], v[82:83], -v[22:23]
	v_add_f64 v[80:81], v[76:77], -v[92:93]
	v_add_f64 v[82:83], v[78:79], -v[94:95]
	v_add_f64 v[88:89], v[84:85], -v[88:89]
	v_add_f64 v[90:91], v[86:87], -v[90:91]
	v_add_f64 v[20:21], v[16:17], -v[96:97]
	v_add_f64 v[22:23], v[18:19], -v[22:23]
	v_fma_f64 v[76:77], v[76:77], 2.0, -v[80:81]
	v_fma_f64 v[78:79], v[78:79], 2.0, -v[82:83]
	v_fma_f64 v[84:85], v[84:85], 2.0, -v[88:89]
	v_fma_f64 v[86:87], v[86:87], 2.0, -v[90:91]
	v_fma_f64 v[16:17], v[16:17], 2.0, -v[20:21]
	v_fma_f64 v[18:19], v[18:19], 2.0, -v[22:23]
	ds_write_b128 v128, v[80:83] offset:64
	ds_write_b128 v128, v[76:79]
	ds_write_b128 v127, v[84:87]
	ds_write_b128 v127, v[88:91] offset:64
	s_and_saveexec_b64 s[2:3], s[0:1]
	s_cbranch_execz .LBB0_41
; %bb.40:
	s_movk_i32 s12, 0x7f8
	v_and_or_b32 v76, v117, s12, v119
	v_lshlrev_b32_e32 v76, 4, v76
	ds_write_b128 v76, v[16:19]
	ds_write_b128 v76, v[20:23] offset:64
.LBB0_41:
	;; [unrolled: 54-line block ×3, first 2 shown]
	s_or_b64 exec, exec, s[2:3]
	s_waitcnt lgkmcnt(0)
	s_barrier
	ds_read_b128 v[76:79], v113
	ds_read_b128 v[16:19], v113 offset:3584
	ds_read_b128 v[84:87], v113 offset:8960
	;; [unrolled: 1-line block ×3, first 2 shown]
	s_and_saveexec_b64 s[2:3], s[0:1]
	s_cbranch_execz .LBB0_47
; %bb.46:
	ds_read_b128 v[20:23], v113 offset:7168
	ds_read_b128 v[24:27], v113 offset:16128
.LBB0_47:
	s_or_b64 exec, exec, s[2:3]
	s_waitcnt lgkmcnt(1)
	v_mul_f64 v[88:89], v[30:31], v[86:87]
	v_mul_f64 v[90:91], v[30:31], v[84:85]
	s_waitcnt lgkmcnt(0)
	v_mul_f64 v[92:93], v[30:31], v[82:83]
	v_mul_f64 v[94:95], v[30:31], v[80:81]
	s_barrier
	v_fma_f64 v[84:85], v[28:29], v[84:85], v[88:89]
	v_fma_f64 v[86:87], v[28:29], v[86:87], -v[90:91]
	v_fma_f64 v[88:89], v[28:29], v[80:81], v[92:93]
	v_fma_f64 v[90:91], v[28:29], v[82:83], -v[94:95]
	v_mul_f64 v[92:93], v[30:31], v[26:27]
	v_mul_f64 v[30:31], v[30:31], v[24:25]
	v_add_f64 v[80:81], v[76:77], -v[84:85]
	v_add_f64 v[82:83], v[78:79], -v[86:87]
	;; [unrolled: 1-line block ×4, first 2 shown]
	v_fma_f64 v[88:89], v[28:29], v[24:25], v[92:93]
	v_fma_f64 v[90:91], v[28:29], v[26:27], -v[30:31]
	v_fma_f64 v[24:25], v[76:77], 2.0, -v[80:81]
	v_fma_f64 v[26:27], v[78:79], 2.0, -v[82:83]
	;; [unrolled: 1-line block ×4, first 2 shown]
	v_add_f64 v[16:17], v[20:21], -v[88:89]
	v_add_f64 v[18:19], v[22:23], -v[90:91]
	ds_write_b128 v131, v[80:83] offset:256
	ds_write_b128 v131, v[24:27]
	ds_write_b128 v132, v[28:31]
	ds_write_b128 v132, v[84:87] offset:256
	s_and_saveexec_b64 s[2:3], s[0:1]
	s_cbranch_execz .LBB0_49
; %bb.48:
	v_fma_f64 v[22:23], v[22:23], 2.0, -v[18:19]
	v_fma_f64 v[20:21], v[20:21], 2.0, -v[16:17]
	s_movk_i32 s12, 0x7e0
	v_and_or_b32 v24, v117, s12, v124
	v_lshlrev_b32_e32 v24, 4, v24
	ds_write_b128 v24, v[20:23]
	ds_write_b128 v24, v[16:19] offset:256
.LBB0_49:
	s_or_b64 exec, exec, s[2:3]
	s_waitcnt lgkmcnt(0)
	s_barrier
	ds_read_b128 v[20:23], v113 offset:7168
	ds_read_b128 v[24:27], v113 offset:10752
	;; [unrolled: 1-line block ×4, first 2 shown]
	s_mov_b32 s2, 0x134454ff
	s_waitcnt lgkmcnt(3)
	v_mul_f64 v[80:81], v[42:43], v[22:23]
	s_waitcnt lgkmcnt(2)
	v_mul_f64 v[82:83], v[38:39], v[26:27]
	;; [unrolled: 2-line block ×3, first 2 shown]
	v_mul_f64 v[46:47], v[46:47], v[28:29]
	s_mov_b32 s3, 0xbfee6f0e
	s_mov_b32 s12, 0x4755a5e
	;; [unrolled: 1-line block ×4, first 2 shown]
	v_fma_f64 v[88:89], v[40:41], v[20:21], v[80:81]
	v_fma_f64 v[90:91], v[36:37], v[24:25], v[82:83]
	ds_read_b128 v[80:83], v113
	s_waitcnt lgkmcnt(1)
	v_mul_f64 v[86:87], v[34:35], v[76:77]
	v_mul_f64 v[20:21], v[42:43], v[20:21]
	;; [unrolled: 1-line block ×4, first 2 shown]
	v_fma_f64 v[28:29], v[44:45], v[28:29], v[84:85]
	v_fma_f64 v[30:31], v[44:45], v[30:31], -v[46:47]
	v_add_f64 v[42:43], v[88:89], v[90:91]
	s_mov_b32 s16, s2
	v_fma_f64 v[38:39], v[32:33], v[78:79], -v[86:87]
	v_fma_f64 v[22:23], v[40:41], v[22:23], -v[20:21]
	;; [unrolled: 1-line block ×3, first 2 shown]
	v_fma_f64 v[32:33], v[32:33], v[76:77], v[34:35]
	s_waitcnt lgkmcnt(0)
	v_add_f64 v[20:21], v[80:81], v[28:29]
	v_add_f64 v[40:41], v[28:29], -v[88:89]
	v_fma_f64 v[24:25], v[42:43], -0.5, v[80:81]
	s_mov_b32 s14, 0x372fe950
	v_add_f64 v[34:35], v[30:31], -v[38:39]
	v_add_f64 v[76:77], v[30:31], v[38:39]
	v_add_f64 v[36:37], v[22:23], -v[26:27]
	v_add_f64 v[42:43], v[32:33], -v[90:91]
	v_add_f64 v[44:45], v[28:29], v[32:33]
	v_add_f64 v[20:21], v[20:21], v[88:89]
	s_mov_b32 s15, 0x3fd3c6ef
	s_mov_b32 s19, 0x3fe2cf23
	v_fma_f64 v[46:47], v[34:35], s[2:3], v[24:25]
	v_fma_f64 v[78:79], v[34:35], s[16:17], v[24:25]
	s_mov_b32 s18, s12
	v_add_f64 v[40:41], v[40:41], v[42:43]
	v_fma_f64 v[42:43], v[44:45], -0.5, v[80:81]
	v_add_f64 v[20:21], v[20:21], v[90:91]
	v_add_f64 v[84:85], v[90:91], -v[32:33]
	v_add_f64 v[86:87], v[82:83], v[30:31]
	v_fma_f64 v[44:45], v[36:37], s[12:13], v[46:47]
	v_add_f64 v[46:47], v[22:23], v[26:27]
	v_fma_f64 v[76:77], v[76:77], -0.5, v[82:83]
	v_fma_f64 v[80:81], v[36:37], s[16:17], v[42:43]
	v_add_f64 v[20:21], v[20:21], v[32:33]
	s_barrier
	v_fma_f64 v[24:25], v[40:41], s[14:15], v[44:45]
	v_add_f64 v[44:45], v[88:89], -v[28:29]
	v_fma_f64 v[46:47], v[46:47], -0.5, v[82:83]
	v_add_f64 v[28:29], v[28:29], -v[32:33]
	v_fma_f64 v[32:33], v[36:37], s[18:19], v[78:79]
	v_add_f64 v[78:79], v[88:89], -v[90:91]
	v_fma_f64 v[36:37], v[36:37], s[2:3], v[42:43]
	v_add_f64 v[42:43], v[86:87], v[22:23]
	v_add_f64 v[86:87], v[38:39], -v[26:27]
	v_add_f64 v[44:45], v[44:45], v[84:85]
	v_add_f64 v[84:85], v[30:31], -v[22:23]
	v_fma_f64 v[82:83], v[28:29], s[16:17], v[46:47]
	v_add_f64 v[22:23], v[22:23], -v[30:31]
	v_fma_f64 v[88:89], v[78:79], s[2:3], v[76:77]
	;; [unrolled: 2-line block ×3, first 2 shown]
	v_fma_f64 v[46:47], v[28:29], s[2:3], v[46:47]
	v_fma_f64 v[80:81], v[34:35], s[12:13], v[80:81]
	;; [unrolled: 1-line block ×3, first 2 shown]
	v_add_f64 v[26:27], v[42:43], v[26:27]
	v_fma_f64 v[42:43], v[78:79], s[18:19], v[82:83]
	v_add_f64 v[82:83], v[84:85], v[86:87]
	v_fma_f64 v[84:85], v[28:29], s[18:19], v[88:89]
	;; [unrolled: 2-line block ×3, first 2 shown]
	v_fma_f64 v[46:47], v[78:79], s[12:13], v[46:47]
	v_fma_f64 v[36:37], v[40:41], s[14:15], v[32:33]
	;; [unrolled: 1-line block ×4, first 2 shown]
	v_add_f64 v[22:23], v[26:27], v[38:39]
	v_fma_f64 v[26:27], v[82:83], s[14:15], v[42:43]
	v_fma_f64 v[34:35], v[30:31], s[14:15], v[84:85]
	;; [unrolled: 1-line block ×4, first 2 shown]
	ds_write_b128 v133, v[20:23]
	ds_write_b128 v133, v[24:27] offset:512
	ds_write_b128 v133, v[32:35] offset:1024
	;; [unrolled: 1-line block ×4, first 2 shown]
	s_waitcnt lgkmcnt(0)
	s_barrier
	s_and_saveexec_b64 s[2:3], s[4:5]
	s_cbranch_execz .LBB0_51
; %bb.50:
	ds_read_b128 v[20:23], v113
	ds_read_b128 v[24:27], v113 offset:2560
	ds_read_b128 v[32:35], v113 offset:5120
	;; [unrolled: 1-line block ×6, first 2 shown]
.LBB0_51:
	s_or_b64 exec, exec, s[2:3]
	s_and_saveexec_b64 s[2:3], s[4:5]
	s_cbranch_execz .LBB0_53
; %bb.52:
	s_waitcnt lgkmcnt(5)
	v_mul_f64 v[40:41], v[58:59], v[26:27]
	s_waitcnt lgkmcnt(0)
	v_mul_f64 v[42:43], v[66:67], v[74:75]
	v_mul_f64 v[44:45], v[50:51], v[38:39]
	v_mul_f64 v[46:47], v[54:55], v[30:31]
	v_mul_f64 v[76:77], v[62:63], v[34:35]
	v_mul_f64 v[78:79], v[70:71], v[18:19]
	v_mul_f64 v[66:67], v[66:67], v[72:73]
	v_mul_f64 v[58:59], v[58:59], v[24:25]
	v_mul_f64 v[70:71], v[70:71], v[16:17]
	v_mul_f64 v[62:63], v[62:63], v[32:33]
	v_fma_f64 v[44:45], v[48:49], v[36:37], v[44:45]
	v_fma_f64 v[46:47], v[52:53], v[28:29], v[46:47]
	;; [unrolled: 1-line block ×4, first 2 shown]
	v_fma_f64 v[66:67], v[64:65], v[74:75], -v[66:67]
	v_fma_f64 v[26:27], v[56:57], v[26:27], -v[58:59]
	;; [unrolled: 1-line block ×4, first 2 shown]
	v_mul_f64 v[18:19], v[54:55], v[28:29]
	v_mul_f64 v[28:29], v[50:51], v[36:37]
	v_fma_f64 v[24:25], v[56:57], v[24:25], v[40:41]
	v_fma_f64 v[36:37], v[64:65], v[72:73], v[42:43]
	v_add_f64 v[40:41], v[44:45], -v[46:47]
	v_add_f64 v[42:43], v[32:33], -v[16:17]
	v_add_f64 v[50:51], v[26:27], v[66:67]
	v_add_f64 v[54:55], v[34:35], v[58:59]
	v_fma_f64 v[30:31], v[52:53], v[30:31], -v[18:19]
	v_fma_f64 v[28:29], v[48:49], v[38:39], -v[28:29]
	s_mov_b32 s12, 0xe976ee23
	v_add_f64 v[38:39], v[24:25], -v[36:37]
	s_mov_b32 s13, 0x3fe11646
	v_add_f64 v[18:19], v[40:41], -v[42:43]
	v_add_f64 v[24:25], v[24:25], v[36:37]
	v_add_f64 v[48:49], v[54:55], v[50:51]
	;; [unrolled: 1-line block ×5, first 2 shown]
	v_add_f64 v[56:57], v[38:39], -v[40:41]
	v_add_f64 v[28:29], v[28:29], -v[30:31]
	v_mul_f64 v[60:61], v[18:19], s[12:13]
	v_add_f64 v[18:19], v[40:41], v[42:43]
	v_add_f64 v[30:31], v[34:35], -v[58:59]
	s_mov_b32 s5, 0xbfd5d0dc
	v_add_f64 v[40:41], v[52:53], v[48:49]
	v_add_f64 v[48:49], v[50:51], -v[52:53]
	s_mov_b32 s4, 0xb247c609
	s_mov_b32 s14, 0x37e14327
	v_fma_f64 v[16:17], v[56:57], s[4:5], v[60:61]
	v_add_f64 v[36:37], v[18:19], v[38:39]
	v_add_f64 v[62:63], v[28:29], -v[30:31]
	s_mov_b32 s15, 0x3fe948f6
	v_add_f64 v[18:19], v[22:23], v[40:41]
	v_add_f64 v[22:23], v[52:53], -v[54:55]
	v_add_f64 v[52:53], v[32:33], v[24:25]
	v_add_f64 v[26:27], v[26:27], -v[66:67]
	v_mul_f64 v[48:49], v[48:49], s[14:15]
	v_add_f64 v[38:39], v[42:43], -v[38:39]
	s_mov_b32 s20, 0x37c3f68c
	s_mov_b32 s21, 0xbfdc38aa
	;; [unrolled: 1-line block ×4, first 2 shown]
	v_add_f64 v[46:47], v[44:45], v[52:53]
	v_add_f64 v[52:53], v[24:25], -v[44:45]
	v_fma_f64 v[58:59], v[36:37], s[20:21], v[16:17]
	s_mov_b32 s17, 0xbff2aaaa
	s_mov_b32 s19, 0x3fac98ee
	v_add_f64 v[42:43], v[26:27], -v[28:29]
	v_fma_f64 v[40:41], v[40:41], s[16:17], v[18:19]
	v_fma_f64 v[34:35], v[22:23], s[18:19], v[48:49]
	v_add_f64 v[16:17], v[20:21], v[46:47]
	v_add_f64 v[20:21], v[44:45], -v[32:33]
	v_mul_f64 v[44:45], v[52:53], s[14:15]
	v_mul_f64 v[52:53], v[62:63], s[12:13]
	s_mov_b32 s12, 0x429ad128
	s_mov_b32 s13, 0xbfebfeb5
	v_mul_f64 v[66:67], v[38:39], s[12:13]
	v_add_f64 v[50:51], v[54:55], -v[50:51]
	v_add_f64 v[54:55], v[30:31], -v[26:27]
	;; [unrolled: 1-line block ×3, first 2 shown]
	v_add_f64 v[28:29], v[28:29], v[30:31]
	v_fma_f64 v[68:69], v[42:43], s[4:5], v[52:53]
	s_mov_b32 s5, 0x3fd5d0dc
	s_mov_b32 s15, 0xbfe77f67
	;; [unrolled: 1-line block ×3, first 2 shown]
	v_add_f64 v[64:65], v[34:35], v[40:41]
	v_mul_f64 v[34:35], v[22:23], s[18:19]
	v_fma_f64 v[30:31], v[56:57], s[4:5], -v[66:67]
	v_fma_f64 v[32:33], v[50:51], s[14:15], -v[48:49]
	v_mul_f64 v[48:49], v[54:55], s[12:13]
	v_mul_f64 v[62:63], v[20:21], s[18:19]
	v_fma_f64 v[46:47], v[46:47], s[16:17], v[16:17]
	v_fma_f64 v[20:21], v[20:21], s[18:19], v[44:45]
	v_fma_f64 v[44:45], v[24:25], s[14:15], -v[44:45]
	s_mov_b32 s15, 0x3fe77f67
	v_add_f64 v[26:27], v[28:29], v[26:27]
	v_fma_f64 v[34:35], v[50:51], s[14:15], -v[34:35]
	v_fma_f64 v[38:39], v[38:39], s[12:13], -v[60:61]
	v_fma_f64 v[28:29], v[36:37], s[20:21], v[30:31]
	v_fma_f64 v[30:31], v[42:43], s[4:5], -v[48:49]
	v_fma_f64 v[24:25], v[24:25], s[14:15], -v[62:63]
	;; [unrolled: 1-line block ×3, first 2 shown]
	v_add_f64 v[20:21], v[20:21], v[46:47]
	v_fma_f64 v[48:49], v[26:27], s[20:21], v[68:69]
	v_add_f64 v[32:33], v[32:33], v[40:41]
	v_add_f64 v[34:35], v[34:35], v[40:41]
	v_fma_f64 v[36:37], v[36:37], s[20:21], v[38:39]
	v_add_f64 v[44:45], v[44:45], v[46:47]
	v_fma_f64 v[50:51], v[26:27], s[20:21], v[30:31]
	;; [unrolled: 2-line block ×3, first 2 shown]
	v_add_f64 v[42:43], v[64:65], -v[58:59]
	v_add_f64 v[40:41], v[48:49], v[20:21]
	v_add_f64 v[38:39], v[32:33], -v[28:29]
	v_add_f64 v[30:31], v[34:35], -v[36:37]
	v_add_f64 v[34:35], v[36:37], v[34:35]
	v_add_f64 v[36:37], v[50:51], v[44:45]
	;; [unrolled: 1-line block ×3, first 2 shown]
	v_add_f64 v[32:33], v[24:25], -v[46:47]
	v_add_f64 v[28:29], v[46:47], v[24:25]
	v_add_f64 v[24:25], v[44:45], -v[50:51]
	v_add_f64 v[22:23], v[58:59], v[64:65]
	v_add_f64 v[20:21], v[20:21], -v[48:49]
	ds_write_b128 v113, v[16:19]
	ds_write_b128 v113, v[40:43] offset:2560
	ds_write_b128 v113, v[36:39] offset:5120
	ds_write_b128 v113, v[32:35] offset:7680
	ds_write_b128 v113, v[28:31] offset:10240
	ds_write_b128 v113, v[24:27] offset:12800
	ds_write_b128 v113, v[20:23] offset:15360
.LBB0_53:
	s_or_b64 exec, exec, s[2:3]
	s_waitcnt lgkmcnt(0)
	s_barrier
	ds_read_b128 v[16:19], v113
	ds_read_b128 v[20:23], v113 offset:3584
	v_mad_u64_u32 v[28:29], s[2:3], s10, v100, 0
	v_mov_b32_e32 v34, s7
	s_waitcnt lgkmcnt(1)
	v_mul_f64 v[25:26], v[14:15], v[18:19]
	v_mul_f64 v[14:15], v[14:15], v[16:17]
	v_mov_b32_e32 v24, v29
	s_mul_hi_u32 s7, s8, 0xfffffeb0
	s_sub_i32 s7, s7, s8
	v_mad_u64_u32 v[29:30], s[2:3], s11, v100, v[24:25]
	v_mad_u64_u32 v[30:31], s[2:3], s8, v116, 0
	v_fma_f64 v[16:17], v[12:13], v[16:17], v[25:26]
	v_fma_f64 v[18:19], v[12:13], v[18:19], -v[14:15]
	v_mov_b32_e32 v12, v31
	v_mad_u64_u32 v[24:25], s[4:5], s9, v116, v[12:13]
	ds_read_b128 v[12:15], v113 offset:8960
	v_lshlrev_b64 v[28:29], 4, v[28:29]
	v_mov_b32_e32 v31, v24
	ds_read_b128 v[24:27], v113 offset:12544
	v_add_co_u32_e32 v28, vcc, s6, v28
	s_waitcnt lgkmcnt(1)
	v_mul_f64 v[32:33], v[2:3], v[14:15]
	v_mul_f64 v[2:3], v[2:3], v[12:13]
	s_mov_b32 s2, 0x1d41d41d
	v_addc_co_u32_e32 v29, vcc, v34, v29, vcc
	s_mov_b32 s3, 0x3f4d41d4
	v_mul_f64 v[16:17], v[16:17], s[2:3]
	v_mul_f64 v[18:19], v[18:19], s[2:3]
	v_fma_f64 v[12:13], v[0:1], v[12:13], v[32:33]
	v_fma_f64 v[2:3], v[0:1], v[14:15], -v[2:3]
	v_lshlrev_b64 v[0:1], 4, v[30:31]
	s_mul_i32 s4, s9, 0x230
	v_add_co_u32_e32 v14, vcc, v28, v0
	v_addc_co_u32_e32 v15, vcc, v29, v1, vcc
	v_mul_f64 v[0:1], v[12:13], s[2:3]
	v_mul_f64 v[12:13], v[6:7], v[22:23]
	;; [unrolled: 1-line block ×4, first 2 shown]
	s_mul_hi_u32 s5, s8, 0x230
	s_add_i32 s5, s5, s4
	s_mul_i32 s4, s8, 0x230
	s_lshl_b64 s[4:5], s[4:5], 4
	global_store_dwordx4 v[14:15], v[16:19], off
	v_fma_f64 v[12:13], v[4:5], v[20:21], v[12:13]
	v_fma_f64 v[4:5], v[4:5], v[22:23], -v[6:7]
	s_waitcnt lgkmcnt(0)
	v_mul_f64 v[6:7], v[10:11], v[26:27]
	v_mul_f64 v[10:11], v[10:11], v[24:25]
	v_mov_b32_e32 v16, s5
	v_add_co_u32_e32 v14, vcc, s4, v14
	v_addc_co_u32_e32 v15, vcc, v15, v16, vcc
	global_store_dwordx4 v[14:15], v[0:3], off
	s_mul_i32 s6, s9, 0xfffffeb0
	v_mul_f64 v[2:3], v[4:5], s[2:3]
	v_fma_f64 v[4:5], v[8:9], v[24:25], v[6:7]
	v_fma_f64 v[6:7], v[8:9], v[26:27], -v[10:11]
	v_mul_f64 v[0:1], v[12:13], s[2:3]
	s_add_i32 s7, s7, s6
	s_mul_i32 s6, s8, 0xfffffeb0
	s_lshl_b64 s[6:7], s[6:7], 4
	v_mov_b32_e32 v9, s7
	v_add_co_u32_e32 v8, vcc, s6, v14
	v_mul_f64 v[4:5], v[4:5], s[2:3]
	v_mul_f64 v[6:7], v[6:7], s[2:3]
	v_addc_co_u32_e32 v9, vcc, v15, v9, vcc
	global_store_dwordx4 v[8:9], v[0:3], off
	s_nop 0
	v_add_co_u32_e32 v0, vcc, s4, v8
	v_addc_co_u32_e32 v1, vcc, v9, v16, vcc
	global_store_dwordx4 v[0:1], v[4:7], off
	s_and_b64 exec, exec, s[0:1]
	s_cbranch_execz .LBB0_55
; %bb.54:
	v_add_co_u32_e32 v2, vcc, 0x1000, v114
	v_addc_co_u32_e32 v3, vcc, 0, v115, vcc
	s_movk_i32 s0, 0x3000
	v_add_co_u32_e32 v6, vcc, s0, v114
	global_load_dwordx4 v[2:5], v[2:3], off offset:3072
	v_addc_co_u32_e32 v7, vcc, 0, v115, vcc
	global_load_dwordx4 v[6:9], v[6:7], off offset:3840
	ds_read_b128 v[10:13], v113 offset:7168
	ds_read_b128 v[14:17], v113 offset:16128
	v_add_co_u32_e32 v0, vcc, s6, v0
	s_waitcnt vmcnt(1) lgkmcnt(1)
	v_mul_f64 v[18:19], v[12:13], v[4:5]
	v_mul_f64 v[4:5], v[10:11], v[4:5]
	s_waitcnt vmcnt(0) lgkmcnt(0)
	v_mul_f64 v[20:21], v[16:17], v[8:9]
	v_mul_f64 v[8:9], v[14:15], v[8:9]
	v_fma_f64 v[10:11], v[10:11], v[2:3], v[18:19]
	v_fma_f64 v[4:5], v[2:3], v[12:13], -v[4:5]
	v_fma_f64 v[12:13], v[14:15], v[6:7], v[20:21]
	v_fma_f64 v[8:9], v[6:7], v[16:17], -v[8:9]
	v_mov_b32_e32 v14, s7
	v_addc_co_u32_e32 v1, vcc, v1, v14, vcc
	v_mul_f64 v[2:3], v[10:11], s[2:3]
	v_mul_f64 v[4:5], v[4:5], s[2:3]
	v_mov_b32_e32 v15, s5
	v_mul_f64 v[6:7], v[12:13], s[2:3]
	v_mul_f64 v[8:9], v[8:9], s[2:3]
	v_add_co_u32_e32 v10, vcc, s4, v0
	v_addc_co_u32_e32 v11, vcc, v1, v15, vcc
	global_store_dwordx4 v[0:1], v[2:5], off
	global_store_dwordx4 v[10:11], v[6:9], off
.LBB0_55:
	s_endpgm
	.section	.rodata,"a",@progbits
	.p2align	6, 0x0
	.amdhsa_kernel bluestein_single_back_len1120_dim1_dp_op_CI_CI
		.amdhsa_group_segment_fixed_size 17920
		.amdhsa_private_segment_fixed_size 0
		.amdhsa_kernarg_size 104
		.amdhsa_user_sgpr_count 6
		.amdhsa_user_sgpr_private_segment_buffer 1
		.amdhsa_user_sgpr_dispatch_ptr 0
		.amdhsa_user_sgpr_queue_ptr 0
		.amdhsa_user_sgpr_kernarg_segment_ptr 1
		.amdhsa_user_sgpr_dispatch_id 0
		.amdhsa_user_sgpr_flat_scratch_init 0
		.amdhsa_user_sgpr_private_segment_size 0
		.amdhsa_uses_dynamic_stack 0
		.amdhsa_system_sgpr_private_segment_wavefront_offset 0
		.amdhsa_system_sgpr_workgroup_id_x 1
		.amdhsa_system_sgpr_workgroup_id_y 0
		.amdhsa_system_sgpr_workgroup_id_z 0
		.amdhsa_system_sgpr_workgroup_info 0
		.amdhsa_system_vgpr_workitem_id 0
		.amdhsa_next_free_vgpr 154
		.amdhsa_next_free_sgpr 30
		.amdhsa_reserve_vcc 1
		.amdhsa_reserve_flat_scratch 0
		.amdhsa_float_round_mode_32 0
		.amdhsa_float_round_mode_16_64 0
		.amdhsa_float_denorm_mode_32 3
		.amdhsa_float_denorm_mode_16_64 3
		.amdhsa_dx10_clamp 1
		.amdhsa_ieee_mode 1
		.amdhsa_fp16_overflow 0
		.amdhsa_exception_fp_ieee_invalid_op 0
		.amdhsa_exception_fp_denorm_src 0
		.amdhsa_exception_fp_ieee_div_zero 0
		.amdhsa_exception_fp_ieee_overflow 0
		.amdhsa_exception_fp_ieee_underflow 0
		.amdhsa_exception_fp_ieee_inexact 0
		.amdhsa_exception_int_div_zero 0
	.end_amdhsa_kernel
	.text
.Lfunc_end0:
	.size	bluestein_single_back_len1120_dim1_dp_op_CI_CI, .Lfunc_end0-bluestein_single_back_len1120_dim1_dp_op_CI_CI
                                        ; -- End function
	.section	.AMDGPU.csdata,"",@progbits
; Kernel info:
; codeLenInByte = 9328
; NumSgprs: 34
; NumVgprs: 154
; ScratchSize: 0
; MemoryBound: 0
; FloatMode: 240
; IeeeMode: 1
; LDSByteSize: 17920 bytes/workgroup (compile time only)
; SGPRBlocks: 4
; VGPRBlocks: 38
; NumSGPRsForWavesPerEU: 34
; NumVGPRsForWavesPerEU: 154
; Occupancy: 1
; WaveLimiterHint : 1
; COMPUTE_PGM_RSRC2:SCRATCH_EN: 0
; COMPUTE_PGM_RSRC2:USER_SGPR: 6
; COMPUTE_PGM_RSRC2:TRAP_HANDLER: 0
; COMPUTE_PGM_RSRC2:TGID_X_EN: 1
; COMPUTE_PGM_RSRC2:TGID_Y_EN: 0
; COMPUTE_PGM_RSRC2:TGID_Z_EN: 0
; COMPUTE_PGM_RSRC2:TIDIG_COMP_CNT: 0
	.type	__hip_cuid_4d5e24f1186e3a28,@object ; @__hip_cuid_4d5e24f1186e3a28
	.section	.bss,"aw",@nobits
	.globl	__hip_cuid_4d5e24f1186e3a28
__hip_cuid_4d5e24f1186e3a28:
	.byte	0                               ; 0x0
	.size	__hip_cuid_4d5e24f1186e3a28, 1

	.ident	"AMD clang version 19.0.0git (https://github.com/RadeonOpenCompute/llvm-project roc-6.4.0 25133 c7fe45cf4b819c5991fe208aaa96edf142730f1d)"
	.section	".note.GNU-stack","",@progbits
	.addrsig
	.addrsig_sym __hip_cuid_4d5e24f1186e3a28
	.amdgpu_metadata
---
amdhsa.kernels:
  - .args:
      - .actual_access:  read_only
        .address_space:  global
        .offset:         0
        .size:           8
        .value_kind:     global_buffer
      - .actual_access:  read_only
        .address_space:  global
        .offset:         8
        .size:           8
        .value_kind:     global_buffer
      - .actual_access:  read_only
        .address_space:  global
        .offset:         16
        .size:           8
        .value_kind:     global_buffer
      - .actual_access:  read_only
        .address_space:  global
        .offset:         24
        .size:           8
        .value_kind:     global_buffer
      - .actual_access:  read_only
        .address_space:  global
        .offset:         32
        .size:           8
        .value_kind:     global_buffer
      - .offset:         40
        .size:           8
        .value_kind:     by_value
      - .address_space:  global
        .offset:         48
        .size:           8
        .value_kind:     global_buffer
      - .address_space:  global
        .offset:         56
        .size:           8
        .value_kind:     global_buffer
      - .address_space:  global
        .offset:         64
        .size:           8
        .value_kind:     global_buffer
      - .address_space:  global
        .offset:         72
        .size:           8
        .value_kind:     global_buffer
      - .offset:         80
        .size:           4
        .value_kind:     by_value
      - .address_space:  global
        .offset:         88
        .size:           8
        .value_kind:     global_buffer
      - .address_space:  global
        .offset:         96
        .size:           8
        .value_kind:     global_buffer
    .group_segment_fixed_size: 17920
    .kernarg_segment_align: 8
    .kernarg_segment_size: 104
    .language:       OpenCL C
    .language_version:
      - 2
      - 0
    .max_flat_workgroup_size: 224
    .name:           bluestein_single_back_len1120_dim1_dp_op_CI_CI
    .private_segment_fixed_size: 0
    .sgpr_count:     34
    .sgpr_spill_count: 0
    .symbol:         bluestein_single_back_len1120_dim1_dp_op_CI_CI.kd
    .uniform_work_group_size: 1
    .uses_dynamic_stack: false
    .vgpr_count:     154
    .vgpr_spill_count: 0
    .wavefront_size: 64
amdhsa.target:   amdgcn-amd-amdhsa--gfx906
amdhsa.version:
  - 1
  - 2
...

	.end_amdgpu_metadata
